;; amdgpu-corpus repo=ROCm/rocFFT kind=compiled arch=gfx1201 opt=O3
	.text
	.amdgcn_target "amdgcn-amd-amdhsa--gfx1201"
	.amdhsa_code_object_version 6
	.protected	fft_rtc_fwd_len576_factors_16_6_6_wgs_96_tpt_96_halfLds_sp_ip_CI_sbrr_dirReg ; -- Begin function fft_rtc_fwd_len576_factors_16_6_6_wgs_96_tpt_96_halfLds_sp_ip_CI_sbrr_dirReg
	.globl	fft_rtc_fwd_len576_factors_16_6_6_wgs_96_tpt_96_halfLds_sp_ip_CI_sbrr_dirReg
	.p2align	8
	.type	fft_rtc_fwd_len576_factors_16_6_6_wgs_96_tpt_96_halfLds_sp_ip_CI_sbrr_dirReg,@function
fft_rtc_fwd_len576_factors_16_6_6_wgs_96_tpt_96_halfLds_sp_ip_CI_sbrr_dirReg: ; @fft_rtc_fwd_len576_factors_16_6_6_wgs_96_tpt_96_halfLds_sp_ip_CI_sbrr_dirReg
; %bb.0:
	s_clause 0x2
	s_load_b64 s[12:13], s[0:1], 0x18
	s_load_b128 s[4:7], s[0:1], 0x0
	s_load_b64 s[8:9], s[0:1], 0x50
	v_mul_u32_u24_e32 v1, 0x2ab, v0
	v_mov_b32_e32 v3, 0
	s_delay_alu instid0(VALU_DEP_2) | instskip(NEXT) | instid1(VALU_DEP_1)
	v_lshrrev_b32_e32 v1, 16, v1
	v_add_nc_u32_e32 v5, ttmp9, v1
	v_mov_b32_e32 v1, 0
	v_mov_b32_e32 v2, 0
	;; [unrolled: 1-line block ×3, first 2 shown]
	s_wait_kmcnt 0x0
	s_load_b64 s[10:11], s[12:13], 0x0
	v_cmp_lt_u64_e64 s2, s[6:7], 2
	s_delay_alu instid0(VALU_DEP_1)
	s_and_b32 vcc_lo, exec_lo, s2
	s_cbranch_vccnz .LBB0_8
; %bb.1:
	s_load_b64 s[2:3], s[0:1], 0x10
	v_mov_b32_e32 v1, 0
	v_mov_b32_e32 v2, 0
	s_add_nc_u64 s[14:15], s[12:13], 8
	s_mov_b64 s[16:17], 1
	s_wait_kmcnt 0x0
	s_add_nc_u64 s[18:19], s[2:3], 8
	s_mov_b32 s3, 0
.LBB0_2:                                ; =>This Inner Loop Header: Depth=1
	s_load_b64 s[20:21], s[18:19], 0x0
                                        ; implicit-def: $vgpr9_vgpr10
	s_mov_b32 s2, exec_lo
	s_wait_kmcnt 0x0
	v_or_b32_e32 v4, s21, v6
	s_delay_alu instid0(VALU_DEP_1)
	v_cmpx_ne_u64_e32 0, v[3:4]
	s_wait_alu 0xfffe
	s_xor_b32 s22, exec_lo, s2
	s_cbranch_execz .LBB0_4
; %bb.3:                                ;   in Loop: Header=BB0_2 Depth=1
	s_cvt_f32_u32 s2, s20
	s_cvt_f32_u32 s23, s21
	s_sub_nc_u64 s[26:27], 0, s[20:21]
	s_wait_alu 0xfffe
	s_delay_alu instid0(SALU_CYCLE_1) | instskip(SKIP_1) | instid1(SALU_CYCLE_2)
	s_fmamk_f32 s2, s23, 0x4f800000, s2
	s_wait_alu 0xfffe
	v_s_rcp_f32 s2, s2
	s_delay_alu instid0(TRANS32_DEP_1) | instskip(SKIP_1) | instid1(SALU_CYCLE_2)
	s_mul_f32 s2, s2, 0x5f7ffffc
	s_wait_alu 0xfffe
	s_mul_f32 s23, s2, 0x2f800000
	s_wait_alu 0xfffe
	s_delay_alu instid0(SALU_CYCLE_2) | instskip(SKIP_1) | instid1(SALU_CYCLE_2)
	s_trunc_f32 s23, s23
	s_wait_alu 0xfffe
	s_fmamk_f32 s2, s23, 0xcf800000, s2
	s_cvt_u32_f32 s25, s23
	s_wait_alu 0xfffe
	s_delay_alu instid0(SALU_CYCLE_1) | instskip(SKIP_1) | instid1(SALU_CYCLE_2)
	s_cvt_u32_f32 s24, s2
	s_wait_alu 0xfffe
	s_mul_u64 s[28:29], s[26:27], s[24:25]
	s_wait_alu 0xfffe
	s_mul_hi_u32 s31, s24, s29
	s_mul_i32 s30, s24, s29
	s_mul_hi_u32 s2, s24, s28
	s_mul_i32 s33, s25, s28
	s_wait_alu 0xfffe
	s_add_nc_u64 s[30:31], s[2:3], s[30:31]
	s_mul_hi_u32 s23, s25, s28
	s_mul_hi_u32 s34, s25, s29
	s_add_co_u32 s2, s30, s33
	s_wait_alu 0xfffe
	s_add_co_ci_u32 s2, s31, s23
	s_mul_i32 s28, s25, s29
	s_add_co_ci_u32 s29, s34, 0
	s_wait_alu 0xfffe
	s_add_nc_u64 s[28:29], s[2:3], s[28:29]
	s_wait_alu 0xfffe
	v_add_co_u32 v4, s2, s24, s28
	s_delay_alu instid0(VALU_DEP_1) | instskip(SKIP_1) | instid1(VALU_DEP_1)
	s_cmp_lg_u32 s2, 0
	s_add_co_ci_u32 s25, s25, s29
	v_readfirstlane_b32 s24, v4
	s_wait_alu 0xfffe
	s_delay_alu instid0(VALU_DEP_1)
	s_mul_u64 s[26:27], s[26:27], s[24:25]
	s_wait_alu 0xfffe
	s_mul_hi_u32 s29, s24, s27
	s_mul_i32 s28, s24, s27
	s_mul_hi_u32 s2, s24, s26
	s_mul_i32 s30, s25, s26
	s_wait_alu 0xfffe
	s_add_nc_u64 s[28:29], s[2:3], s[28:29]
	s_mul_hi_u32 s23, s25, s26
	s_mul_hi_u32 s24, s25, s27
	s_wait_alu 0xfffe
	s_add_co_u32 s2, s28, s30
	s_add_co_ci_u32 s2, s29, s23
	s_mul_i32 s26, s25, s27
	s_add_co_ci_u32 s27, s24, 0
	s_wait_alu 0xfffe
	s_add_nc_u64 s[26:27], s[2:3], s[26:27]
	s_wait_alu 0xfffe
	v_add_co_u32 v4, s2, v4, s26
	s_delay_alu instid0(VALU_DEP_1) | instskip(SKIP_1) | instid1(VALU_DEP_1)
	s_cmp_lg_u32 s2, 0
	s_add_co_ci_u32 s2, s25, s27
	v_mul_hi_u32 v13, v5, v4
	s_wait_alu 0xfffe
	v_mad_co_u64_u32 v[7:8], null, v5, s2, 0
	v_mad_co_u64_u32 v[9:10], null, v6, v4, 0
	;; [unrolled: 1-line block ×3, first 2 shown]
	s_delay_alu instid0(VALU_DEP_3) | instskip(SKIP_1) | instid1(VALU_DEP_4)
	v_add_co_u32 v4, vcc_lo, v13, v7
	s_wait_alu 0xfffd
	v_add_co_ci_u32_e32 v7, vcc_lo, 0, v8, vcc_lo
	s_delay_alu instid0(VALU_DEP_2) | instskip(SKIP_1) | instid1(VALU_DEP_2)
	v_add_co_u32 v4, vcc_lo, v4, v9
	s_wait_alu 0xfffd
	v_add_co_ci_u32_e32 v4, vcc_lo, v7, v10, vcc_lo
	s_wait_alu 0xfffd
	v_add_co_ci_u32_e32 v7, vcc_lo, 0, v12, vcc_lo
	s_delay_alu instid0(VALU_DEP_2) | instskip(SKIP_1) | instid1(VALU_DEP_2)
	v_add_co_u32 v4, vcc_lo, v4, v11
	s_wait_alu 0xfffd
	v_add_co_ci_u32_e32 v9, vcc_lo, 0, v7, vcc_lo
	s_delay_alu instid0(VALU_DEP_2) | instskip(SKIP_1) | instid1(VALU_DEP_3)
	v_mul_lo_u32 v10, s21, v4
	v_mad_co_u64_u32 v[7:8], null, s20, v4, 0
	v_mul_lo_u32 v11, s20, v9
	s_delay_alu instid0(VALU_DEP_2) | instskip(NEXT) | instid1(VALU_DEP_2)
	v_sub_co_u32 v7, vcc_lo, v5, v7
	v_add3_u32 v8, v8, v11, v10
	s_delay_alu instid0(VALU_DEP_1) | instskip(SKIP_1) | instid1(VALU_DEP_1)
	v_sub_nc_u32_e32 v10, v6, v8
	s_wait_alu 0xfffd
	v_subrev_co_ci_u32_e64 v10, s2, s21, v10, vcc_lo
	v_add_co_u32 v11, s2, v4, 2
	s_wait_alu 0xf1ff
	v_add_co_ci_u32_e64 v12, s2, 0, v9, s2
	v_sub_co_u32 v13, s2, v7, s20
	v_sub_co_ci_u32_e32 v8, vcc_lo, v6, v8, vcc_lo
	s_wait_alu 0xf1ff
	v_subrev_co_ci_u32_e64 v10, s2, 0, v10, s2
	s_delay_alu instid0(VALU_DEP_3) | instskip(NEXT) | instid1(VALU_DEP_3)
	v_cmp_le_u32_e32 vcc_lo, s20, v13
	v_cmp_eq_u32_e64 s2, s21, v8
	s_wait_alu 0xfffd
	v_cndmask_b32_e64 v13, 0, -1, vcc_lo
	v_cmp_le_u32_e32 vcc_lo, s21, v10
	s_wait_alu 0xfffd
	v_cndmask_b32_e64 v14, 0, -1, vcc_lo
	v_cmp_le_u32_e32 vcc_lo, s20, v7
	;; [unrolled: 3-line block ×3, first 2 shown]
	s_wait_alu 0xfffd
	v_cndmask_b32_e64 v15, 0, -1, vcc_lo
	v_cmp_eq_u32_e32 vcc_lo, s21, v10
	s_wait_alu 0xf1ff
	s_delay_alu instid0(VALU_DEP_2)
	v_cndmask_b32_e64 v7, v15, v7, s2
	s_wait_alu 0xfffd
	v_cndmask_b32_e32 v10, v14, v13, vcc_lo
	v_add_co_u32 v13, vcc_lo, v4, 1
	s_wait_alu 0xfffd
	v_add_co_ci_u32_e32 v14, vcc_lo, 0, v9, vcc_lo
	s_delay_alu instid0(VALU_DEP_3) | instskip(SKIP_1) | instid1(VALU_DEP_2)
	v_cmp_ne_u32_e32 vcc_lo, 0, v10
	s_wait_alu 0xfffd
	v_dual_cndmask_b32 v11, v13, v11 :: v_dual_cndmask_b32 v8, v14, v12
	v_cmp_ne_u32_e32 vcc_lo, 0, v7
	s_wait_alu 0xfffd
	s_delay_alu instid0(VALU_DEP_2)
	v_dual_cndmask_b32 v10, v9, v8 :: v_dual_cndmask_b32 v9, v4, v11
.LBB0_4:                                ;   in Loop: Header=BB0_2 Depth=1
	s_wait_alu 0xfffe
	s_and_not1_saveexec_b32 s2, s22
	s_cbranch_execz .LBB0_6
; %bb.5:                                ;   in Loop: Header=BB0_2 Depth=1
	v_cvt_f32_u32_e32 v4, s20
	s_sub_co_i32 s22, 0, s20
	v_mov_b32_e32 v10, v3
	s_delay_alu instid0(VALU_DEP_2) | instskip(NEXT) | instid1(TRANS32_DEP_1)
	v_rcp_iflag_f32_e32 v4, v4
	v_mul_f32_e32 v4, 0x4f7ffffe, v4
	s_delay_alu instid0(VALU_DEP_1) | instskip(SKIP_1) | instid1(VALU_DEP_1)
	v_cvt_u32_f32_e32 v4, v4
	s_wait_alu 0xfffe
	v_mul_lo_u32 v7, s22, v4
	s_delay_alu instid0(VALU_DEP_1) | instskip(NEXT) | instid1(VALU_DEP_1)
	v_mul_hi_u32 v7, v4, v7
	v_add_nc_u32_e32 v4, v4, v7
	s_delay_alu instid0(VALU_DEP_1) | instskip(NEXT) | instid1(VALU_DEP_1)
	v_mul_hi_u32 v4, v5, v4
	v_mul_lo_u32 v7, v4, s20
	v_add_nc_u32_e32 v8, 1, v4
	s_delay_alu instid0(VALU_DEP_2) | instskip(NEXT) | instid1(VALU_DEP_1)
	v_sub_nc_u32_e32 v7, v5, v7
	v_subrev_nc_u32_e32 v9, s20, v7
	v_cmp_le_u32_e32 vcc_lo, s20, v7
	s_wait_alu 0xfffd
	s_delay_alu instid0(VALU_DEP_2) | instskip(NEXT) | instid1(VALU_DEP_1)
	v_dual_cndmask_b32 v7, v7, v9 :: v_dual_cndmask_b32 v4, v4, v8
	v_cmp_le_u32_e32 vcc_lo, s20, v7
	s_delay_alu instid0(VALU_DEP_2) | instskip(SKIP_1) | instid1(VALU_DEP_1)
	v_add_nc_u32_e32 v8, 1, v4
	s_wait_alu 0xfffd
	v_cndmask_b32_e32 v9, v4, v8, vcc_lo
.LBB0_6:                                ;   in Loop: Header=BB0_2 Depth=1
	s_wait_alu 0xfffe
	s_or_b32 exec_lo, exec_lo, s2
	s_load_b64 s[22:23], s[14:15], 0x0
	v_mul_lo_u32 v4, v10, s20
	v_mul_lo_u32 v11, v9, s21
	v_mad_co_u64_u32 v[7:8], null, v9, s20, 0
	s_add_nc_u64 s[16:17], s[16:17], 1
	s_add_nc_u64 s[14:15], s[14:15], 8
	s_wait_alu 0xfffe
	v_cmp_ge_u64_e64 s2, s[16:17], s[6:7]
	s_add_nc_u64 s[18:19], s[18:19], 8
	s_delay_alu instid0(VALU_DEP_2) | instskip(NEXT) | instid1(VALU_DEP_3)
	v_add3_u32 v4, v8, v11, v4
	v_sub_co_u32 v5, vcc_lo, v5, v7
	s_wait_alu 0xfffd
	s_delay_alu instid0(VALU_DEP_2) | instskip(SKIP_3) | instid1(VALU_DEP_2)
	v_sub_co_ci_u32_e32 v4, vcc_lo, v6, v4, vcc_lo
	s_and_b32 vcc_lo, exec_lo, s2
	s_wait_kmcnt 0x0
	v_mul_lo_u32 v6, s23, v5
	v_mul_lo_u32 v4, s22, v4
	v_mad_co_u64_u32 v[1:2], null, s22, v5, v[1:2]
	s_delay_alu instid0(VALU_DEP_1)
	v_add3_u32 v2, v6, v2, v4
	s_wait_alu 0xfffe
	s_cbranch_vccnz .LBB0_9
; %bb.7:                                ;   in Loop: Header=BB0_2 Depth=1
	v_dual_mov_b32 v5, v9 :: v_dual_mov_b32 v6, v10
	s_branch .LBB0_2
.LBB0_8:
	v_dual_mov_b32 v10, v6 :: v_dual_mov_b32 v9, v5
.LBB0_9:
	s_lshl_b64 s[2:3], s[6:7], 3
	v_mul_hi_u32 v15, 0x2aaaaab, v0
	s_wait_alu 0xfffe
	s_add_nc_u64 s[2:3], s[12:13], s[2:3]
	v_dual_mov_b32 v4, 0 :: v_dual_mov_b32 v35, 0
	s_load_b64 s[2:3], s[2:3], 0x0
	s_load_b64 s[0:1], s[0:1], 0x20
	v_dual_mov_b32 v3, 0 :: v_dual_mov_b32 v12, 0
	v_dual_mov_b32 v11, 0 :: v_dual_mov_b32 v14, 0
	v_mul_u32_u24_e32 v15, 0x60, v15
	v_dual_mov_b32 v13, 0 :: v_dual_mov_b32 v8, 0
	v_dual_mov_b32 v7, 0 :: v_dual_mov_b32 v6, 0
	;; [unrolled: 1-line block ×5, first 2 shown]
	v_sub_nc_u32_e32 v0, v0, v15
	v_mov_b32_e32 v15, 0
                                        ; implicit-def: $vgpr26
                                        ; implicit-def: $vgpr30
                                        ; implicit-def: $vgpr34
                                        ; implicit-def: $vgpr28
                                        ; implicit-def: $vgpr32
                                        ; implicit-def: $vgpr24
	s_wait_kmcnt 0x0
	v_mul_lo_u32 v21, s2, v10
	v_mul_lo_u32 v22, s3, v9
	v_mad_co_u64_u32 v[1:2], null, s2, v9, v[1:2]
	v_cmp_gt_u64_e32 vcc_lo, s[0:1], v[9:10]
                                        ; implicit-def: $vgpr10
	s_delay_alu instid0(VALU_DEP_2)
	v_add3_u32 v2, v22, v2, v21
                                        ; implicit-def: $vgpr22
	s_and_saveexec_b32 s1, vcc_lo
	s_cbranch_execz .LBB0_13
; %bb.10:
	v_cmp_gt_u32_e64 s0, 36, v0
	v_dual_mov_b32 v15, 0 :: v_dual_mov_b32 v16, 0
	v_dual_mov_b32 v19, 0 :: v_dual_mov_b32 v20, 0
	;; [unrolled: 1-line block ×8, first 2 shown]
                                        ; implicit-def: $vgpr23
                                        ; implicit-def: $vgpr31
                                        ; implicit-def: $vgpr27
                                        ; implicit-def: $vgpr33
                                        ; implicit-def: $vgpr21
                                        ; implicit-def: $vgpr29
                                        ; implicit-def: $vgpr25
                                        ; implicit-def: $vgpr9
	s_and_saveexec_b32 s2, s0
	s_cbranch_execz .LBB0_12
; %bb.11:
	v_add_nc_u32_e32 v14, 36, v0
	v_mad_co_u64_u32 v[3:4], null, s10, v0, 0
	v_add_nc_u32_e32 v16, 0x48, v0
	v_lshlrev_b64_e32 v[7:8], 3, v[1:2]
	s_delay_alu instid0(VALU_DEP_4) | instskip(SKIP_1) | instid1(VALU_DEP_4)
	v_mad_co_u64_u32 v[5:6], null, s10, v14, 0
	v_add_nc_u32_e32 v17, 0x6c, v0
	v_mad_co_u64_u32 v[9:10], null, s10, v16, 0
	s_delay_alu instid0(VALU_DEP_4)
	v_add_co_u32 v41, s0, s8, v7
	s_wait_alu 0xf1ff
	v_add_co_ci_u32_e64 v42, s0, s9, v8, s0
	v_mad_co_u64_u32 v[11:12], null, s11, v0, v[4:5]
	v_mov_b32_e32 v4, v6
	v_mad_co_u64_u32 v[12:13], null, s10, v17, 0
	v_add_nc_u32_e32 v22, 0xb4, v0
	v_add_nc_u32_e32 v24, 0xd8, v0
	s_delay_alu instid0(VALU_DEP_4)
	v_mad_co_u64_u32 v[14:15], null, s11, v14, v[4:5]
	v_mad_co_u64_u32 v[7:8], null, s11, v16, v[10:11]
	v_mov_b32_e32 v8, v13
	v_add_nc_u32_e32 v26, 0xfc, v0
	v_add_nc_u32_e32 v30, 0x144, v0
	v_dual_mov_b32 v6, v14 :: v_dual_add_nc_u32 v31, 0x168, v0
	s_delay_alu instid0(VALU_DEP_4) | instskip(SKIP_2) | instid1(VALU_DEP_4)
	v_mad_co_u64_u32 v[16:17], null, s11, v17, v[8:9]
	v_add_nc_u32_e32 v18, 0x90, v0
	v_mov_b32_e32 v10, v7
	v_lshlrev_b64_e32 v[5:6], 3, v[5:6]
	v_mad_co_u64_u32 v[28:29], null, s10, v31, 0
	v_add_nc_u32_e32 v43, 0x21c, v0
	v_mov_b32_e32 v13, v16
	v_mad_co_u64_u32 v[14:15], null, s10, v18, 0
	v_mad_co_u64_u32 v[16:17], null, s10, v22, 0
	v_mov_b32_e32 v4, v11
	v_lshlrev_b64_e32 v[8:9], 3, v[9:10]
	s_delay_alu instid0(VALU_DEP_4) | instskip(NEXT) | instid1(VALU_DEP_3)
	v_mov_b32_e32 v7, v15
	v_lshlrev_b64_e32 v[3:4], 3, v[3:4]
	s_delay_alu instid0(VALU_DEP_2) | instskip(NEXT) | instid1(VALU_DEP_2)
	v_mad_co_u64_u32 v[10:11], null, s11, v18, v[7:8]
	v_add_co_u32 v3, s0, v41, v3
	s_wait_alu 0xf1ff
	s_delay_alu instid0(VALU_DEP_3)
	v_add_co_ci_u32_e64 v4, s0, v42, v4, s0
	v_add_co_u32 v5, s0, v41, v5
	v_lshlrev_b64_e32 v[11:12], 3, v[12:13]
	v_mad_co_u64_u32 v[18:19], null, s10, v24, 0
	s_wait_alu 0xf1ff
	v_add_co_ci_u32_e64 v6, s0, v42, v6, s0
	v_add_co_u32 v7, s0, v41, v8
	s_wait_alu 0xf1ff
	v_add_co_ci_u32_e64 v8, s0, v42, v9, s0
	v_add_co_u32 v9, s0, v41, v11
	v_mov_b32_e32 v11, v17
	v_mov_b32_e32 v15, v10
	s_wait_alu 0xf1ff
	v_add_co_ci_u32_e64 v10, s0, v42, v12, s0
	v_mov_b32_e32 v12, v19
	s_delay_alu instid0(VALU_DEP_3) | instskip(NEXT) | instid1(VALU_DEP_2)
	v_lshlrev_b64_e32 v[20:21], 3, v[14:15]
	v_mad_co_u64_u32 v[22:23], null, s11, v22, v[11:12]
	v_mad_co_u64_u32 v[23:24], null, s11, v24, v[12:13]
	s_clause 0x3
	global_load_b64 v[3:4], v[3:4], off
	global_load_b64 v[11:12], v[5:6], off
	;; [unrolled: 1-line block ×4, first 2 shown]
	v_mad_co_u64_u32 v[24:25], null, s10, v26, 0
	v_add_co_u32 v5, s0, v41, v20
	v_mov_b32_e32 v17, v22
	v_dual_mov_b32 v19, v23 :: v_dual_add_nc_u32 v20, 0x120, v0
	s_wait_alu 0xf1ff
	v_add_co_ci_u32_e64 v6, s0, v42, v21, s0
	v_mov_b32_e32 v9, v25
	v_lshlrev_b64_e32 v[15:16], 3, v[16:17]
	v_lshlrev_b64_e32 v[17:18], 3, v[18:19]
	v_mad_co_u64_u32 v[21:22], null, s10, v20, 0
	s_delay_alu instid0(VALU_DEP_4) | instskip(NEXT) | instid1(VALU_DEP_4)
	v_mad_co_u64_u32 v[9:10], null, s11, v26, v[9:10]
	v_add_co_u32 v15, s0, v41, v15
	s_wait_alu 0xf1ff
	v_add_co_ci_u32_e64 v16, s0, v42, v16, s0
	s_delay_alu instid0(VALU_DEP_3) | instskip(SKIP_3) | instid1(VALU_DEP_3)
	v_mov_b32_e32 v25, v9
	v_add_co_u32 v9, s0, v41, v17
	s_wait_alu 0xf1ff
	v_add_co_ci_u32_e64 v10, s0, v42, v18, s0
	v_lshlrev_b64_e32 v[18:19], 3, v[24:25]
	v_mov_b32_e32 v17, v22
	v_mad_co_u64_u32 v[23:24], null, s10, v30, 0
	s_delay_alu instid0(VALU_DEP_2) | instskip(SKIP_1) | instid1(VALU_DEP_3)
	v_mad_co_u64_u32 v[25:26], null, s11, v20, v[17:18]
	v_add_co_u32 v26, s0, v41, v18
	v_mov_b32_e32 v17, v24
	s_wait_alu 0xf1ff
	v_add_co_ci_u32_e64 v27, s0, v42, v19, s0
	s_delay_alu instid0(VALU_DEP_4) | instskip(NEXT) | instid1(VALU_DEP_3)
	v_mov_b32_e32 v22, v25
	v_mad_co_u64_u32 v[24:25], null, s11, v30, v[17:18]
	s_clause 0x3
	global_load_b64 v[5:6], v[5:6], off
	global_load_b64 v[17:18], v[15:16], off
	;; [unrolled: 1-line block ×4, first 2 shown]
	v_add_nc_u32_e32 v27, 0x18c, v0
	v_mov_b32_e32 v9, v29
	v_lshlrev_b64_e32 v[21:22], 3, v[21:22]
	s_delay_alu instid0(VALU_DEP_3) | instskip(NEXT) | instid1(VALU_DEP_3)
	v_mad_co_u64_u32 v[25:26], null, s10, v27, 0
	v_mad_co_u64_u32 v[9:10], null, s11, v31, v[9:10]
	v_add_nc_u32_e32 v34, 0x1b0, v0
	v_lshlrev_b64_e32 v[23:24], 3, v[23:24]
	v_add_co_u32 v21, s0, v41, v21
	s_wait_alu 0xf1ff
	v_add_co_ci_u32_e64 v22, s0, v42, v22, s0
	v_mov_b32_e32 v29, v9
	v_mov_b32_e32 v9, v26
	v_mad_co_u64_u32 v[30:31], null, s10, v34, 0
	v_add_co_u32 v23, s0, v41, v23
	s_delay_alu instid0(VALU_DEP_3) | instskip(SKIP_1) | instid1(VALU_DEP_4)
	v_mad_co_u64_u32 v[9:10], null, s11, v27, v[9:10]
	v_lshlrev_b64_e32 v[27:28], 3, v[28:29]
	v_dual_mov_b32 v10, v31 :: v_dual_add_nc_u32 v29, 0x1f8, v0
	s_wait_alu 0xf1ff
	v_add_co_ci_u32_e64 v24, s0, v42, v24, s0
	s_delay_alu instid0(VALU_DEP_4) | instskip(NEXT) | instid1(VALU_DEP_4)
	v_mov_b32_e32 v26, v9
	v_add_co_u32 v27, s0, v41, v27
	s_wait_alu 0xf1ff
	v_add_co_ci_u32_e64 v28, s0, v42, v28, s0
	s_delay_alu instid0(VALU_DEP_3) | instskip(NEXT) | instid1(VALU_DEP_1)
	v_lshlrev_b64_e32 v[25:26], 3, v[25:26]
	v_add_co_u32 v39, s0, v41, v25
	s_wait_alu 0xf1ff
	s_delay_alu instid0(VALU_DEP_2) | instskip(SKIP_4) | instid1(VALU_DEP_3)
	v_add_co_ci_u32_e64 v40, s0, v42, v26, s0
	s_wait_loadcnt 0x6
	v_mad_co_u64_u32 v[9:10], null, s11, v34, v[10:11]
	v_add_nc_u32_e32 v36, 0x1d4, v0
	v_mad_co_u64_u32 v[34:35], null, s10, v29, 0
	v_mov_b32_e32 v31, v9
	s_delay_alu instid0(VALU_DEP_3) | instskip(NEXT) | instid1(VALU_DEP_2)
	v_mad_co_u64_u32 v[32:33], null, s10, v36, 0
	v_lshlrev_b64_e32 v[25:26], 3, v[30:31]
	s_delay_alu instid0(VALU_DEP_2) | instskip(NEXT) | instid1(VALU_DEP_1)
	v_mov_b32_e32 v10, v33
	v_mad_co_u64_u32 v[36:37], null, s11, v36, v[10:11]
	v_mad_co_u64_u32 v[37:38], null, s10, v43, 0
	s_delay_alu instid0(VALU_DEP_2) | instskip(NEXT) | instid1(VALU_DEP_1)
	v_dual_mov_b32 v10, v35 :: v_dual_mov_b32 v33, v36
	v_mad_co_u64_u32 v[9:10], null, s11, v29, v[10:11]
	s_delay_alu instid0(VALU_DEP_3) | instskip(NEXT) | instid1(VALU_DEP_1)
	v_mov_b32_e32 v10, v38
	v_mad_co_u64_u32 v[29:30], null, s11, v43, v[10:11]
	s_delay_alu instid0(VALU_DEP_3)
	v_mov_b32_e32 v35, v9
	v_lshlrev_b64_e32 v[30:31], 3, v[32:33]
	v_add_co_u32 v32, s0, v41, v25
	s_wait_alu 0xf1ff
	v_add_co_ci_u32_e64 v33, s0, v42, v26, s0
	v_mov_b32_e32 v38, v29
	v_lshlrev_b64_e32 v[9:10], 3, v[34:35]
	v_add_co_u32 v35, s0, v41, v30
	s_wait_alu 0xf1ff
	v_add_co_ci_u32_e64 v36, s0, v42, v31, s0
	v_lshlrev_b64_e32 v[25:26], 3, v[37:38]
	s_delay_alu instid0(VALU_DEP_4) | instskip(SKIP_2) | instid1(VALU_DEP_3)
	v_add_co_u32 v37, s0, v41, v9
	s_wait_alu 0xf1ff
	v_add_co_ci_u32_e64 v38, s0, v42, v10, s0
	v_add_co_u32 v41, s0, v41, v25
	s_wait_alu 0xf1ff
	v_add_co_ci_u32_e64 v42, s0, v42, v26, s0
	s_clause 0x7
	global_load_b64 v[9:10], v[21:22], off
	global_load_b64 v[25:26], v[23:24], off
	;; [unrolled: 1-line block ×8, first 2 shown]
.LBB0_12:
	s_wait_alu 0xfffe
	s_or_b32 exec_lo, exec_lo, s2
	v_mov_b32_e32 v35, v0
.LBB0_13:
	s_wait_alu 0xfffe
	s_or_b32 exec_lo, exec_lo, s1
	s_wait_loadcnt 0x5
	v_dual_sub_f32 v36, v13, v29 :: v_dual_sub_f32 v37, v14, v30
	s_wait_loadcnt 0x3
	v_sub_f32_e32 v29, v5, v33
	v_sub_f32_e32 v33, v6, v34
	s_wait_loadcnt 0x1
	v_dual_sub_f32 v31, v19, v31 :: v_dual_sub_f32 v26, v12, v26
	v_fma_f32 v30, v14, 2.0, -v37
	v_sub_f32_e32 v14, v20, v32
	v_dual_sub_f32 v32, v11, v25 :: v_dual_sub_f32 v27, v17, v27
	v_sub_f32_e32 v22, v8, v22
	v_fma_f32 v13, v13, 2.0, -v36
	v_fma_f32 v19, v19, 2.0, -v31
	;; [unrolled: 1-line block ×4, first 2 shown]
	s_wait_loadcnt 0x0
	v_dual_sub_f32 v25, v18, v28 :: v_dual_sub_f32 v28, v15, v23
	v_fma_f32 v17, v17, 2.0, -v27
	v_dual_sub_f32 v21, v7, v21 :: v_dual_sub_f32 v24, v16, v24
	v_sub_f32_e32 v14, v36, v14
	v_fma_f32 v12, v12, 2.0, -v26
	v_fma_f32 v34, v18, 2.0, -v25
	v_dual_sub_f32 v18, v13, v19 :: v_dual_sub_f32 v23, v30, v20
	v_fma_f32 v16, v16, 2.0, -v24
	v_dual_add_f32 v20, v37, v31 :: v_dual_sub_f32 v41, v32, v25
	v_sub_f32_e32 v31, v11, v17
	v_fma_f32 v17, v36, 2.0, -v14
	v_sub_f32_e32 v24, v21, v24
	v_fma_f32 v38, v7, 2.0, -v21
	v_fma_f32 v8, v8, 2.0, -v22
	;; [unrolled: 1-line block ×3, first 2 shown]
	v_dual_mul_f32 v19, 0x3f3504f3, v17 :: v_dual_sub_f32 v34, v12, v34
	v_fma_f32 v7, v11, 2.0, -v31
	v_add_f32_e32 v11, v26, v27
	v_fma_f32 v21, v21, 2.0, -v24
	v_add_f32_e32 v28, v22, v28
	v_fma_f32 v25, v12, 2.0, -v34
	v_fma_f32 v12, v32, 2.0, -v41
	v_dual_sub_f32 v15, v38, v15 :: v_dual_sub_f32 v32, v8, v16
	v_fma_f32 v26, v26, 2.0, -v11
	v_fma_f32 v22, v22, 2.0, -v28
	;; [unrolled: 1-line block ×3, first 2 shown]
	s_delay_alu instid0(VALU_DEP_4)
	v_fma_f32 v27, v38, 2.0, -v15
	v_fma_f32 v8, v8, 2.0, -v32
	v_fmamk_f32 v16, v21, 0xbf3504f3, v12
	v_fmamk_f32 v17, v22, 0xbf3504f3, v26
	v_dual_mul_f32 v37, 0x3f3504f3, v36 :: v_dual_mul_f32 v36, 0x3f3504f3, v14
	v_mul_f32_e32 v40, 0x3f3504f3, v20
	v_dual_sub_f32 v20, v7, v27 :: v_dual_sub_f32 v39, v25, v8
	v_fmac_f32_e32 v16, 0xbf3504f3, v22
	v_fmac_f32_e32 v17, 0x3f3504f3, v21
	v_fmamk_f32 v22, v24, 0x3f3504f3, v41
	v_dual_fmamk_f32 v27, v28, 0x3f3504f3, v11 :: v_dual_sub_f32 v8, v31, v32
	v_add_f32_e32 v14, v34, v15
	v_fma_f32 v21, v12, 2.0, -v16
	s_delay_alu instid0(VALU_DEP_4) | instskip(NEXT) | instid1(VALU_DEP_4)
	v_fmac_f32_e32 v22, 0xbf3504f3, v28
	v_fmac_f32_e32 v27, 0x3f3504f3, v24
	v_fma_f32 v12, v31, 2.0, -v8
	v_fma_f32 v15, v34, 2.0, -v14
	;; [unrolled: 1-line block ×5, first 2 shown]
	v_mul_f32_e32 v28, 0x3f3504f3, v12
	v_mul_f32_e32 v34, 0x3f3504f3, v15
	;; [unrolled: 1-line block ×4, first 2 shown]
	v_cmp_gt_u32_e64 s0, 36, v0
	s_delay_alu instid0(VALU_DEP_1)
	s_and_saveexec_b32 s1, s0
	s_cbranch_execz .LBB0_15
; %bb.14:
	v_sub_f32_e32 v8, v3, v9
	v_fma_f32 v43, v7, 2.0, -v20
	v_fma_f32 v5, v5, 2.0, -v29
	;; [unrolled: 1-line block ×3, first 2 shown]
	v_lshl_add_u32 v51, v0, 6, 0
	v_sub_f32_e32 v9, v8, v33
	s_delay_alu instid0(VALU_DEP_1) | instskip(SKIP_2) | instid1(VALU_DEP_2)
	v_add_f32_e32 v11, v9, v36
	v_fma_f32 v15, v8, 2.0, -v9
	v_fma_f32 v3, v3, 2.0, -v8
	v_sub_f32_e32 v7, v15, v19
	s_delay_alu instid0(VALU_DEP_1) | instskip(SKIP_1) | instid1(VALU_DEP_1)
	v_sub_f32_e32 v46, v7, v37
	v_sub_f32_e32 v13, v11, v40
	v_dual_fmamk_f32 v8, v22, 0x3f6c835e, v13 :: v_dual_sub_f32 v5, v3, v5
	s_delay_alu instid0(VALU_DEP_1) | instskip(NEXT) | instid1(VALU_DEP_2)
	v_fmac_f32_e32 v8, 0xbec3ef15, v27
	v_fma_f32 v3, v3, 2.0, -v5
	s_delay_alu instid0(VALU_DEP_1) | instskip(SKIP_3) | instid1(VALU_DEP_4)
	v_dual_sub_f32 v45, v3, v12 :: v_dual_fmamk_f32 v12, v16, 0x3ec3ef15, v46
	v_fma_f32 v9, v9, 2.0, -v13
	v_sub_f32_e32 v41, v5, v23
	v_fma_f32 v42, v13, 2.0, -v8
	v_fmac_f32_e32 v12, 0xbf6c835e, v17
	s_delay_alu instid0(VALU_DEP_3) | instskip(SKIP_1) | instid1(VALU_DEP_2)
	v_dual_fmamk_f32 v14, v24, 0xbec3ef15, v9 :: v_dual_add_f32 v11, v41, v32
	v_fma_f32 v5, v5, 2.0, -v41
	v_dual_fmac_f32 v14, 0xbf6c835e, v31 :: v_dual_sub_f32 v7, v11, v38
	v_sub_f32_e32 v11, v45, v39
	v_fma_f32 v15, v15, 2.0, -v46
	v_fma_f32 v3, v3, 2.0, -v45
	s_delay_alu instid0(VALU_DEP_4)
	v_fma_f32 v48, v9, 2.0, -v14
	v_fma_f32 v41, v41, 2.0, -v7
	;; [unrolled: 1-line block ×3, first 2 shown]
	v_fmamk_f32 v44, v21, 0xbf6c835e, v15
	v_sub_f32_e32 v47, v5, v28
	v_sub_f32_e32 v43, v3, v43
	v_fma_f32 v46, v46, 2.0, -v12
	s_delay_alu instid0(VALU_DEP_4) | instskip(NEXT) | instid1(VALU_DEP_4)
	v_fmac_f32_e32 v44, 0xbec3ef15, v26
	v_sub_f32_e32 v13, v47, v34
	s_delay_alu instid0(VALU_DEP_4) | instskip(NEXT) | instid1(VALU_DEP_3)
	v_fma_f32 v49, v3, 2.0, -v43
	v_fma_f32 v50, v15, 2.0, -v44
	s_delay_alu instid0(VALU_DEP_3)
	v_fma_f32 v47, v5, 2.0, -v13
	ds_store_2addr_b64 v51, v[49:50], v[47:48] offset1:1
	ds_store_2addr_b64 v51, v[45:46], v[41:42] offset0:2 offset1:3
	ds_store_2addr_b64 v51, v[43:44], v[13:14] offset0:4 offset1:5
	;; [unrolled: 1-line block ×3, first 2 shown]
.LBB0_15:
	s_wait_alu 0xfffe
	s_or_b32 exec_lo, exec_lo, s1
	v_lshl_add_u32 v9, v0, 2, 0
	global_wb scope:SCOPE_SE
	s_wait_dscnt 0x0
	s_barrier_signal -1
	s_barrier_wait -1
	global_inv scope:SCOPE_SE
	v_add_nc_u32_e32 v5, 0x200, v9
	v_add_nc_u32_e32 v15, 0x400, v9
	ds_load_2addr_b32 v[7:8], v9 offset1:96
	ds_load_2addr_b32 v[13:14], v5 offset0:64 offset1:160
	ds_load_2addr_b32 v[11:12], v15 offset0:128 offset1:224
	global_wb scope:SCOPE_SE
	s_wait_dscnt 0x0
	s_barrier_signal -1
	s_barrier_wait -1
	global_inv scope:SCOPE_SE
	s_and_saveexec_b32 s1, s0
	s_cbranch_execz .LBB0_17
; %bb.16:
	v_sub_f32_e32 v3, v4, v10
	v_fma_f32 v6, v6, 2.0, -v33
	v_fma_f32 v23, v30, 2.0, -v23
	;; [unrolled: 1-line block ×3, first 2 shown]
	s_delay_alu instid0(VALU_DEP_4) | instskip(NEXT) | instid1(VALU_DEP_1)
	v_fma_f32 v4, v4, 2.0, -v3
	v_sub_f32_e32 v6, v4, v6
	s_delay_alu instid0(VALU_DEP_1) | instskip(NEXT) | instid1(VALU_DEP_1)
	v_dual_add_f32 v10, v3, v29 :: v_dual_add_f32 v33, v6, v18
	v_add_f32_e32 v29, v10, v40
	v_fma_f32 v3, v3, 2.0, -v10
	v_fma_f32 v30, v4, 2.0, -v6
	s_delay_alu instid0(VALU_DEP_4) | instskip(NEXT) | instid1(VALU_DEP_4)
	v_fma_f32 v6, v6, 2.0, -v33
	v_add_f32_e32 v29, v36, v29
	s_delay_alu instid0(VALU_DEP_3) | instskip(SKIP_1) | instid1(VALU_DEP_3)
	v_dual_sub_f32 v4, v3, v37 :: v_dual_sub_f32 v37, v30, v23
	v_mad_u32_u24 v36, v0, 60, v9
	v_fma_f32 v10, v10, 2.0, -v29
	s_delay_alu instid0(VALU_DEP_3) | instskip(NEXT) | instid1(VALU_DEP_4)
	v_add_f32_e32 v39, v19, v4
	v_fma_f32 v30, v30, 2.0, -v37
	v_add_f32_e32 v23, v33, v38
	s_delay_alu instid0(VALU_DEP_4) | instskip(SKIP_1) | instid1(VALU_DEP_2)
	v_dual_add_f32 v19, v37, v20 :: v_dual_fmamk_f32 v18, v31, 0xbec3ef15, v10
	v_fmamk_f32 v4, v27, 0x3f6c835e, v29
	v_fmac_f32_e32 v18, 0x3f6c835e, v24
	s_delay_alu instid0(VALU_DEP_2)
	v_fmac_f32_e32 v4, 0x3ec3ef15, v22
	v_sub_f32_e32 v22, v30, v25
	v_fma_f32 v38, v3, 2.0, -v39
	v_dual_sub_f32 v27, v6, v34 :: v_dual_fmamk_f32 v20, v17, 0x3ec3ef15, v39
	v_add_f32_e32 v3, v32, v23
	v_fma_f32 v31, v10, 2.0, -v18
	s_delay_alu instid0(VALU_DEP_4) | instskip(NEXT) | instid1(VALU_DEP_4)
	v_fmamk_f32 v23, v26, 0xbf6c835e, v38
	v_dual_add_f32 v17, v28, v27 :: v_dual_fmac_f32 v20, 0x3f6c835e, v16
	v_fma_f32 v27, v29, 2.0, -v4
	v_fma_f32 v28, v30, 2.0, -v22
	s_delay_alu instid0(VALU_DEP_4) | instskip(NEXT) | instid1(VALU_DEP_4)
	v_fmac_f32_e32 v23, 0x3ec3ef15, v21
	v_fma_f32 v30, v6, 2.0, -v17
	v_fma_f32 v24, v37, 2.0, -v19
	;; [unrolled: 1-line block ×5, first 2 shown]
	ds_store_2addr_b64 v36, v[28:29], v[30:31] offset1:1
	ds_store_2addr_b64 v36, v[24:25], v[26:27] offset0:2 offset1:3
	ds_store_2addr_b64 v36, v[22:23], v[17:18] offset0:4 offset1:5
	;; [unrolled: 1-line block ×3, first 2 shown]
.LBB0_17:
	s_wait_alu 0xfffe
	s_or_b32 exec_lo, exec_lo, s1
	v_and_b32_e32 v6, 15, v0
	global_wb scope:SCOPE_SE
	s_wait_dscnt 0x0
	s_barrier_signal -1
	s_barrier_wait -1
	global_inv scope:SCOPE_SE
	v_mul_u32_u24_e32 v3, 5, v6
	v_lshrrev_b32_e32 v10, 4, v0
	s_delay_alu instid0(VALU_DEP_2) | instskip(NEXT) | instid1(VALU_DEP_2)
	v_lshlrev_b32_e32 v3, 3, v3
	v_mul_u32_u24_e32 v10, 0x60, v10
	s_clause 0x2
	global_load_b128 v[16:19], v3, s[4:5]
	global_load_b128 v[20:23], v3, s[4:5] offset:16
	global_load_b64 v[3:4], v3, s[4:5] offset:32
	ds_load_2addr_b32 v[24:25], v9 offset1:96
	ds_load_2addr_b32 v[26:27], v5 offset0:64 offset1:160
	ds_load_2addr_b32 v[28:29], v15 offset0:128 offset1:224
	v_or_b32_e32 v6, v10, v6
	global_wb scope:SCOPE_SE
	s_wait_loadcnt_dscnt 0x0
	s_barrier_signal -1
	s_barrier_wait -1
	global_inv scope:SCOPE_SE
	v_lshl_add_u32 v10, v6, 2, 0
	v_mul_f32_e32 v6, v25, v17
	v_dual_mul_f32 v30, v26, v19 :: v_dual_mul_f32 v31, v27, v21
	v_dual_mul_f32 v21, v14, v21 :: v_dual_mul_f32 v32, v28, v23
	v_mul_f32_e32 v17, v8, v17
	v_mul_f32_e32 v19, v13, v19
	v_fma_f32 v6, v8, v16, -v6
	v_fma_f32 v8, v13, v18, -v30
	;; [unrolled: 1-line block ×3, first 2 shown]
	v_mul_f32_e32 v23, v11, v23
	v_fma_f32 v11, v11, v22, -v32
	v_mul_f32_e32 v33, v29, v4
	v_dual_mul_f32 v4, v12, v4 :: v_dual_fmac_f32 v19, v26, v18
	s_delay_alu instid0(VALU_DEP_3) | instskip(NEXT) | instid1(VALU_DEP_3)
	v_add_f32_e32 v14, v8, v11
	v_fma_f32 v12, v12, v3, -v33
	s_delay_alu instid0(VALU_DEP_3) | instskip(NEXT) | instid1(VALU_DEP_4)
	v_dual_fmac_f32 v4, v29, v3 :: v_dual_fmac_f32 v21, v27, v20
	v_add_f32_e32 v18, v24, v19
	v_dual_add_f32 v20, v6, v13 :: v_dual_fmac_f32 v23, v28, v22
	s_delay_alu instid0(VALU_DEP_4) | instskip(SKIP_2) | instid1(VALU_DEP_4)
	v_add_f32_e32 v22, v13, v12
	v_fmac_f32_e32 v17, v25, v16
	v_dual_add_f32 v3, v7, v8 :: v_dual_sub_f32 v8, v8, v11
	v_sub_f32_e32 v16, v19, v23
	s_delay_alu instid0(VALU_DEP_3) | instskip(SKIP_1) | instid1(VALU_DEP_2)
	v_dual_add_f32 v19, v19, v23 :: v_dual_add_f32 v26, v17, v21
	v_dual_sub_f32 v25, v21, v4 :: v_dual_fmac_f32 v6, -0.5, v22
	v_dual_add_f32 v21, v21, v4 :: v_dual_fmac_f32 v24, -0.5, v19
	v_sub_f32_e32 v13, v13, v12
	v_dual_add_f32 v3, v3, v11 :: v_dual_add_f32 v12, v20, v12
	v_dual_fmac_f32 v7, -0.5, v14 :: v_dual_add_f32 v14, v26, v4
	v_dual_add_f32 v11, v18, v23 :: v_dual_fmamk_f32 v4, v25, 0x3f5db3d7, v6
	v_fmac_f32_e32 v6, 0xbf5db3d7, v25
	v_fmac_f32_e32 v17, -0.5, v21
	s_delay_alu instid0(VALU_DEP_4) | instskip(SKIP_1) | instid1(VALU_DEP_4)
	v_fmamk_f32 v19, v16, 0x3f5db3d7, v7
	v_dual_fmac_f32 v7, 0xbf5db3d7, v16 :: v_dual_fmamk_f32 v20, v8, 0xbf5db3d7, v24
	v_mul_f32_e32 v16, -0.5, v6
	s_delay_alu instid0(VALU_DEP_4) | instskip(SKIP_3) | instid1(VALU_DEP_3)
	v_fmamk_f32 v18, v13, 0xbf5db3d7, v17
	v_dual_fmac_f32 v17, 0x3f5db3d7, v13 :: v_dual_fmac_f32 v24, 0x3f5db3d7, v8
	v_add_f32_e32 v8, v3, v12
	v_sub_f32_e32 v3, v3, v12
	v_dual_mul_f32 v13, 0x3f5db3d7, v18 :: v_dual_fmac_f32 v16, 0x3f5db3d7, v17
	v_dual_mul_f32 v12, 0xbf5db3d7, v4 :: v_dual_mul_f32 v17, -0.5, v17
	s_delay_alu instid0(VALU_DEP_1) | instskip(NEXT) | instid1(VALU_DEP_2)
	v_dual_fmac_f32 v13, 0.5, v4 :: v_dual_fmac_f32 v12, 0.5, v18
	v_fmac_f32_e32 v17, 0xbf5db3d7, v6
	s_delay_alu instid0(VALU_DEP_4) | instskip(NEXT) | instid1(VALU_DEP_3)
	v_add_f32_e32 v21, v7, v16
	v_add_f32_e32 v4, v19, v13
	v_sub_f32_e32 v13, v19, v13
	s_delay_alu instid0(VALU_DEP_4)
	v_dual_sub_f32 v7, v7, v16 :: v_dual_add_f32 v16, v24, v17
	ds_store_2addr_b32 v10, v8, v4 offset1:16
	ds_store_2addr_b32 v10, v21, v3 offset0:32 offset1:48
	ds_store_2addr_b32 v10, v13, v7 offset0:64 offset1:80
	global_wb scope:SCOPE_SE
	s_wait_dscnt 0x0
	s_barrier_signal -1
	s_barrier_wait -1
	global_inv scope:SCOPE_SE
	ds_load_2addr_b32 v[3:4], v9 offset1:96
	ds_load_2addr_b32 v[5:6], v5 offset0:64 offset1:160
	ds_load_2addr_b32 v[7:8], v15 offset0:128 offset1:224
	v_add_f32_e32 v13, v11, v14
	v_add_f32_e32 v15, v20, v12
	v_dual_sub_f32 v11, v11, v14 :: v_dual_sub_f32 v14, v24, v17
	v_sub_f32_e32 v12, v20, v12
	global_wb scope:SCOPE_SE
	s_wait_dscnt 0x0
	s_barrier_signal -1
	s_barrier_wait -1
	global_inv scope:SCOPE_SE
	ds_store_2addr_b32 v10, v13, v15 offset1:16
	ds_store_2addr_b32 v10, v16, v11 offset0:32 offset1:48
	ds_store_2addr_b32 v10, v12, v14 offset0:64 offset1:80
	global_wb scope:SCOPE_SE
	s_wait_dscnt 0x0
	s_barrier_signal -1
	s_barrier_wait -1
	global_inv scope:SCOPE_SE
	s_and_saveexec_b32 s0, vcc_lo
	s_cbranch_execz .LBB0_19
; %bb.18:
	v_mul_u32_u24_e32 v0, 5, v0
	v_add_nc_u32_e32 v42, 0xc0, v35
	v_mad_co_u64_u32 v[22:23], null, s10, v35, 0
	v_add_nc_u32_e32 v43, 0x120, v35
	v_add_nc_u32_e32 v45, 0x1e0, v35
	s_delay_alu instid0(VALU_DEP_4)
	v_mad_co_u64_u32 v[28:29], null, s10, v42, 0
	v_lshlrev_b32_e32 v0, 3, v0
	v_or_b32_e32 v44, 0x180, v35
	s_clause 0x2
	global_load_b128 v[10:13], v0, s[4:5] offset:640
	global_load_b128 v[14:17], v0, s[4:5] offset:656
	global_load_b64 v[18:19], v0, s[4:5] offset:672
	v_lshlrev_b64_e32 v[0:1], 3, v[1:2]
	v_mov_b32_e32 v2, v23
	v_mad_co_u64_u32 v[30:31], null, s10, v43, 0
	v_mad_co_u64_u32 v[36:37], null, s10, v45, 0
	v_add_nc_u32_e32 v24, 0x200, v9
	v_add_nc_u32_e32 v40, 0x60, v35
	ds_load_2addr_b32 v[20:21], v9 offset1:96
	v_mad_co_u64_u32 v[32:33], null, s10, v44, 0
	v_mov_b32_e32 v23, v31
	ds_load_2addr_b32 v[24:25], v24 offset0:64 offset1:160
	v_dual_mov_b32 v9, v29 :: v_dual_add_nc_u32 v34, 0x400, v9
	v_mov_b32_e32 v29, v37
	v_mad_co_u64_u32 v[26:27], null, s10, v40, 0
	ds_load_2addr_b32 v[38:39], v34 offset0:128 offset1:224
	v_mad_co_u64_u32 v[34:35], null, s11, v35, v[2:3]
	v_dual_mov_b32 v2, v27 :: v_dual_mov_b32 v27, v33
	s_delay_alu instid0(VALU_DEP_1)
	v_mad_co_u64_u32 v[40:41], null, s11, v40, v[2:3]
	v_add_co_u32 v2, vcc_lo, s8, v0
	s_wait_loadcnt 0x2
	v_mad_co_u64_u32 v[41:42], null, s11, v42, v[9:10]
	s_wait_dscnt 0x1
	v_mad_co_u64_u32 v[42:43], null, s11, v43, v[23:24]
	v_mov_b32_e32 v23, v34
	v_mad_co_u64_u32 v[43:44], null, s11, v44, v[27:28]
	v_dual_mov_b32 v27, v40 :: v_dual_mul_f32 v34, v21, v11
	s_wait_alu 0xfffd
	v_add_co_ci_u32_e32 v9, vcc_lo, s9, v1, vcc_lo
	v_lshlrev_b64_e32 v[0:1], 3, v[22:23]
	v_mad_co_u64_u32 v[44:45], null, s11, v45, v[29:30]
	v_mov_b32_e32 v29, v41
	v_lshlrev_b64_e32 v[22:23], 3, v[26:27]
	v_mov_b32_e32 v31, v42
	s_wait_loadcnt 0x1
	v_mul_f32_e32 v35, v25, v15
	v_add_co_u32 v0, vcc_lo, v2, v0
	v_lshlrev_b64_e32 v[26:27], 3, v[28:29]
	v_mov_b32_e32 v33, v43
	s_wait_alu 0xfffd
	v_add_co_ci_u32_e32 v1, vcc_lo, v9, v1, vcc_lo
	v_lshlrev_b64_e32 v[28:29], 3, v[30:31]
	v_add_co_u32 v22, vcc_lo, v2, v22
	v_mul_f32_e32 v11, v4, v11
	v_fma_f32 v4, v4, v10, -v34
	v_mul_f32_e32 v15, v6, v15
	v_fma_f32 v6, v6, v14, -v35
	v_mov_b32_e32 v37, v44
	s_wait_alu 0xfffd
	v_add_co_ci_u32_e32 v23, vcc_lo, v9, v23, vcc_lo
	v_lshlrev_b64_e32 v[30:31], 3, v[32:33]
	v_add_co_u32 v26, vcc_lo, v2, v26
	s_wait_alu 0xfffd
	v_add_co_ci_u32_e32 v27, vcc_lo, v9, v27, vcc_lo
	v_lshlrev_b64_e32 v[32:33], 3, v[36:37]
	v_add_co_u32 v28, vcc_lo, v2, v28
	s_wait_alu 0xfffd
	v_add_co_ci_u32_e32 v29, vcc_lo, v9, v29, vcc_lo
	v_add_co_u32 v30, vcc_lo, v2, v30
	s_wait_loadcnt_dscnt 0x0
	v_mul_f32_e32 v36, v39, v19
	v_mul_f32_e32 v19, v8, v19
	s_wait_alu 0xfffd
	v_add_co_ci_u32_e32 v31, vcc_lo, v9, v31, vcc_lo
	v_add_co_u32 v32, vcc_lo, v2, v32
	s_wait_alu 0xfffd
	v_add_co_ci_u32_e32 v33, vcc_lo, v9, v33, vcc_lo
	v_mul_f32_e32 v2, v24, v13
	v_mul_f32_e32 v13, v5, v13
	v_fmac_f32_e32 v15, v14, v25
	v_fmac_f32_e32 v19, v18, v39
	v_mul_f32_e32 v9, v38, v17
	v_fma_f32 v2, v5, v12, -v2
	v_fmac_f32_e32 v13, v12, v24
	v_mul_f32_e32 v17, v7, v17
	v_sub_f32_e32 v12, v15, v19
	v_fma_f32 v5, v7, v16, -v9
	v_fma_f32 v7, v8, v18, -v36
	v_dual_add_f32 v18, v13, v20 :: v_dual_fmac_f32 v11, v10, v21
	s_delay_alu instid0(VALU_DEP_3) | instskip(NEXT) | instid1(VALU_DEP_3)
	v_sub_f32_e32 v8, v2, v5
	v_add_f32_e32 v10, v6, v7
	v_sub_f32_e32 v14, v6, v7
	v_add_f32_e32 v6, v4, v6
	v_fmac_f32_e32 v17, v16, v38
	s_delay_alu instid0(VALU_DEP_4) | instskip(NEXT) | instid1(VALU_DEP_3)
	v_fma_f32 v10, -0.5, v10, v4
	v_add_f32_e32 v6, v6, v7
	v_dual_add_f32 v21, v2, v5 :: v_dual_add_f32 v2, v3, v2
	s_delay_alu instid0(VALU_DEP_4) | instskip(NEXT) | instid1(VALU_DEP_4)
	v_add_f32_e32 v4, v17, v18
	v_fmamk_f32 v18, v12, 0xbf5db3d7, v10
	v_dual_add_f32 v16, v15, v19 :: v_dual_add_f32 v9, v13, v17
	v_dual_sub_f32 v13, v13, v17 :: v_dual_fmac_f32 v10, 0x3f5db3d7, v12
	v_add_f32_e32 v17, v2, v5
	s_delay_alu instid0(VALU_DEP_3) | instskip(NEXT) | instid1(VALU_DEP_2)
	v_fma_f32 v9, -0.5, v9, v20
	v_dual_sub_f32 v2, v17, v6 :: v_dual_add_f32 v15, v11, v15
	v_fma_f32 v11, -0.5, v16, v11
	v_fma_f32 v16, -0.5, v21, v3
	s_delay_alu instid0(VALU_DEP_4) | instskip(NEXT) | instid1(VALU_DEP_2)
	v_fmamk_f32 v7, v8, 0x3f5db3d7, v9
	v_fmamk_f32 v12, v13, 0xbf5db3d7, v16
	v_dual_fmac_f32 v16, 0x3f5db3d7, v13 :: v_dual_add_f32 v15, v15, v19
	v_fmamk_f32 v19, v14, 0x3f5db3d7, v11
	v_fmac_f32_e32 v11, 0xbf5db3d7, v14
	v_fmac_f32_e32 v9, 0xbf5db3d7, v8
	s_delay_alu instid0(VALU_DEP_3) | instskip(NEXT) | instid1(VALU_DEP_3)
	v_dual_mul_f32 v13, 0xbf5db3d7, v10 :: v_dual_mul_f32 v8, -0.5, v19
	v_mul_f32_e32 v14, 0x3f5db3d7, v11
	s_delay_alu instid0(VALU_DEP_2) | instskip(SKIP_2) | instid1(VALU_DEP_4)
	v_dual_fmac_f32 v8, 0xbf5db3d7, v18 :: v_dual_sub_f32 v3, v4, v15
	v_add_f32_e32 v5, v4, v15
	v_mul_f32_e32 v15, -0.5, v18
	v_fmac_f32_e32 v14, 0.5, v10
	v_add_f32_e32 v4, v17, v6
	s_delay_alu instid0(VALU_DEP_2)
	v_dual_add_f32 v6, v16, v14 :: v_dual_fmac_f32 v15, 0x3f5db3d7, v19
	global_store_b64 v[0:1], v[4:5], off
	v_sub_f32_e32 v1, v7, v8
	v_dual_add_f32 v5, v7, v8 :: v_dual_sub_f32 v8, v16, v14
	v_add_f32_e32 v4, v12, v15
	v_sub_f32_e32 v0, v12, v15
	v_fmac_f32_e32 v13, 0.5, v11
	s_delay_alu instid0(VALU_DEP_1)
	v_add_f32_e32 v7, v9, v13
	v_sub_f32_e32 v9, v9, v13
	s_clause 0x4
	global_store_b64 v[22:23], v[6:7], off
	global_store_b64 v[26:27], v[4:5], off
	;; [unrolled: 1-line block ×5, first 2 shown]
.LBB0_19:
	s_nop 0
	s_sendmsg sendmsg(MSG_DEALLOC_VGPRS)
	s_endpgm
	.section	.rodata,"a",@progbits
	.p2align	6, 0x0
	.amdhsa_kernel fft_rtc_fwd_len576_factors_16_6_6_wgs_96_tpt_96_halfLds_sp_ip_CI_sbrr_dirReg
		.amdhsa_group_segment_fixed_size 0
		.amdhsa_private_segment_fixed_size 0
		.amdhsa_kernarg_size 88
		.amdhsa_user_sgpr_count 2
		.amdhsa_user_sgpr_dispatch_ptr 0
		.amdhsa_user_sgpr_queue_ptr 0
		.amdhsa_user_sgpr_kernarg_segment_ptr 1
		.amdhsa_user_sgpr_dispatch_id 0
		.amdhsa_user_sgpr_private_segment_size 0
		.amdhsa_wavefront_size32 1
		.amdhsa_uses_dynamic_stack 0
		.amdhsa_enable_private_segment 0
		.amdhsa_system_sgpr_workgroup_id_x 1
		.amdhsa_system_sgpr_workgroup_id_y 0
		.amdhsa_system_sgpr_workgroup_id_z 0
		.amdhsa_system_sgpr_workgroup_info 0
		.amdhsa_system_vgpr_workitem_id 0
		.amdhsa_next_free_vgpr 52
		.amdhsa_next_free_sgpr 35
		.amdhsa_reserve_vcc 1
		.amdhsa_float_round_mode_32 0
		.amdhsa_float_round_mode_16_64 0
		.amdhsa_float_denorm_mode_32 3
		.amdhsa_float_denorm_mode_16_64 3
		.amdhsa_fp16_overflow 0
		.amdhsa_workgroup_processor_mode 1
		.amdhsa_memory_ordered 1
		.amdhsa_forward_progress 0
		.amdhsa_round_robin_scheduling 0
		.amdhsa_exception_fp_ieee_invalid_op 0
		.amdhsa_exception_fp_denorm_src 0
		.amdhsa_exception_fp_ieee_div_zero 0
		.amdhsa_exception_fp_ieee_overflow 0
		.amdhsa_exception_fp_ieee_underflow 0
		.amdhsa_exception_fp_ieee_inexact 0
		.amdhsa_exception_int_div_zero 0
	.end_amdhsa_kernel
	.text
.Lfunc_end0:
	.size	fft_rtc_fwd_len576_factors_16_6_6_wgs_96_tpt_96_halfLds_sp_ip_CI_sbrr_dirReg, .Lfunc_end0-fft_rtc_fwd_len576_factors_16_6_6_wgs_96_tpt_96_halfLds_sp_ip_CI_sbrr_dirReg
                                        ; -- End function
	.section	.AMDGPU.csdata,"",@progbits
; Kernel info:
; codeLenInByte = 5628
; NumSgprs: 37
; NumVgprs: 52
; ScratchSize: 0
; MemoryBound: 0
; FloatMode: 240
; IeeeMode: 1
; LDSByteSize: 0 bytes/workgroup (compile time only)
; SGPRBlocks: 4
; VGPRBlocks: 6
; NumSGPRsForWavesPerEU: 37
; NumVGPRsForWavesPerEU: 52
; Occupancy: 16
; WaveLimiterHint : 1
; COMPUTE_PGM_RSRC2:SCRATCH_EN: 0
; COMPUTE_PGM_RSRC2:USER_SGPR: 2
; COMPUTE_PGM_RSRC2:TRAP_HANDLER: 0
; COMPUTE_PGM_RSRC2:TGID_X_EN: 1
; COMPUTE_PGM_RSRC2:TGID_Y_EN: 0
; COMPUTE_PGM_RSRC2:TGID_Z_EN: 0
; COMPUTE_PGM_RSRC2:TIDIG_COMP_CNT: 0
	.text
	.p2alignl 7, 3214868480
	.fill 96, 4, 3214868480
	.type	__hip_cuid_df6ee6ea857424d8,@object ; @__hip_cuid_df6ee6ea857424d8
	.section	.bss,"aw",@nobits
	.globl	__hip_cuid_df6ee6ea857424d8
__hip_cuid_df6ee6ea857424d8:
	.byte	0                               ; 0x0
	.size	__hip_cuid_df6ee6ea857424d8, 1

	.ident	"AMD clang version 19.0.0git (https://github.com/RadeonOpenCompute/llvm-project roc-6.4.0 25133 c7fe45cf4b819c5991fe208aaa96edf142730f1d)"
	.section	".note.GNU-stack","",@progbits
	.addrsig
	.addrsig_sym __hip_cuid_df6ee6ea857424d8
	.amdgpu_metadata
---
amdhsa.kernels:
  - .args:
      - .actual_access:  read_only
        .address_space:  global
        .offset:         0
        .size:           8
        .value_kind:     global_buffer
      - .offset:         8
        .size:           8
        .value_kind:     by_value
      - .actual_access:  read_only
        .address_space:  global
        .offset:         16
        .size:           8
        .value_kind:     global_buffer
      - .actual_access:  read_only
        .address_space:  global
        .offset:         24
        .size:           8
        .value_kind:     global_buffer
      - .offset:         32
        .size:           8
        .value_kind:     by_value
      - .actual_access:  read_only
        .address_space:  global
        .offset:         40
        .size:           8
        .value_kind:     global_buffer
      - .actual_access:  read_only
        .address_space:  global
        .offset:         48
        .size:           8
        .value_kind:     global_buffer
      - .offset:         56
        .size:           4
        .value_kind:     by_value
      - .actual_access:  read_only
        .address_space:  global
        .offset:         64
        .size:           8
        .value_kind:     global_buffer
      - .actual_access:  read_only
        .address_space:  global
        .offset:         72
        .size:           8
        .value_kind:     global_buffer
      - .address_space:  global
        .offset:         80
        .size:           8
        .value_kind:     global_buffer
    .group_segment_fixed_size: 0
    .kernarg_segment_align: 8
    .kernarg_segment_size: 88
    .language:       OpenCL C
    .language_version:
      - 2
      - 0
    .max_flat_workgroup_size: 96
    .name:           fft_rtc_fwd_len576_factors_16_6_6_wgs_96_tpt_96_halfLds_sp_ip_CI_sbrr_dirReg
    .private_segment_fixed_size: 0
    .sgpr_count:     37
    .sgpr_spill_count: 0
    .symbol:         fft_rtc_fwd_len576_factors_16_6_6_wgs_96_tpt_96_halfLds_sp_ip_CI_sbrr_dirReg.kd
    .uniform_work_group_size: 1
    .uses_dynamic_stack: false
    .vgpr_count:     52
    .vgpr_spill_count: 0
    .wavefront_size: 32
    .workgroup_processor_mode: 1
amdhsa.target:   amdgcn-amd-amdhsa--gfx1201
amdhsa.version:
  - 1
  - 2
...

	.end_amdgpu_metadata
